;; amdgpu-corpus repo=ROCm/hip-tests kind=compiled arch=gfx906 opt=O3
	.amdgcn_target "amdgcn-amd-amdhsa--gfx906"
	.amdhsa_code_object_version 6
	.text
	.protected	_Z10mandelbrotPjjffffj  ; -- Begin function _Z10mandelbrotPjjffffj
	.globl	_Z10mandelbrotPjjffffj
	.p2align	8
	.type	_Z10mandelbrotPjjffffj,@function
_Z10mandelbrotPjjffffj:                 ; @_Z10mandelbrotPjjffffj
; %bb.0:
	s_load_dwordx4 s[0:3], s[4:5], 0x8
	s_load_dwordx2 s[8:9], s[4:5], 0x18
	s_load_dword s7, s[4:5], 0x2c
	s_waitcnt lgkmcnt(0)
	v_cvt_f32_u32_e32 v1, s0
	s_sub_i32 s10, 0, s0
	s_and_b32 s7, s7, 0xffff
	s_mul_i32 s6, s6, s7
	v_rcp_iflag_f32_e32 v1, v1
	v_add_u32_e32 v0, s6, v0
	v_mov_b32_e32 v4, s1
	s_cmp_lg_u32 s9, 0
	v_mul_f32_e32 v1, 0x4f7ffffe, v1
	v_cvt_u32_f32_e32 v1, v1
	s_mov_b32 s6, 0
	v_mul_lo_u32 v2, s10, v1
	v_mul_hi_u32 v2, v1, v2
	v_add_u32_e32 v1, v1, v2
	v_mul_hi_u32 v1, v0, v1
	v_mul_lo_u32 v2, v1, s0
	v_add_u32_e32 v3, 1, v1
	v_sub_u32_e32 v2, v0, v2
	v_cmp_le_u32_e32 vcc, s0, v2
	v_cndmask_b32_e32 v1, v1, v3, vcc
	v_subrev_u32_e32 v3, s0, v2
	v_cndmask_b32_e32 v2, v2, v3, vcc
	v_add_u32_e32 v3, 1, v1
	v_cmp_le_u32_e32 vcc, s0, v2
	v_cndmask_b32_e32 v2, v1, v3, vcc
	v_mul_lo_u32 v3, v2, s0
	v_cvt_f32_i32_e32 v2, v2
	v_mov_b32_e32 v1, s2
	s_cselect_b64 s[0:1], -1, 0
	v_sub_u32_e32 v3, v0, v3
	v_cvt_f32_i32_e32 v3, v3
	v_fmac_f32_e32 v1, s8, v2
	v_fma_f32 v2, s3, v3, v4
	v_mul_f32_e32 v3, v2, v2
	v_fmac_f32_e32 v3, v1, v1
	v_cmp_ge_f32_e32 vcc, 4.0, v3
	s_and_b64 s[2:3], vcc, s[0:1]
	v_mov_b32_e32 v3, 0
	s_and_saveexec_b64 s[0:1], s[2:3]
	s_cbranch_execz .LBB0_4
; %bb.1:
	s_mov_b64 s[2:3], 0
	v_mov_b32_e32 v5, v2
	v_mov_b32_e32 v4, v1
.LBB0_2:                                ; =>This Inner Loop Header: Depth=1
	v_fma_f32 v3, v5, v5, v2
	v_add_f32_e32 v5, v5, v5
	v_fma_f32 v6, -v4, v4, v3
	s_add_i32 s6, s6, 1
	v_fma_f32 v4, v5, v4, v1
	v_mul_f32_e32 v5, v6, v6
	s_cmp_ge_u32 s6, s9
	v_fmac_f32_e32 v5, v4, v4
	s_cselect_b64 s[10:11], -1, 0
	v_cmp_nge_f32_e32 vcc, 4.0, v5
	s_or_b64 s[10:11], vcc, s[10:11]
	s_and_b64 s[10:11], exec, s[10:11]
	v_mov_b32_e32 v3, s6
	s_or_b64 s[2:3], s[10:11], s[2:3]
	v_mov_b32_e32 v5, v6
	s_andn2_b64 exec, exec, s[2:3]
	s_cbranch_execnz .LBB0_2
; %bb.3:
	s_or_b64 exec, exec, s[2:3]
.LBB0_4:
	s_or_b64 exec, exec, s[0:1]
	s_load_dwordx2 s[0:1], s[4:5], 0x0
	v_ashrrev_i32_e32 v1, 31, v0
	v_lshlrev_b64 v[0:1], 2, v[0:1]
	s_waitcnt lgkmcnt(0)
	v_mov_b32_e32 v2, s1
	v_add_co_u32_e32 v0, vcc, s0, v0
	v_addc_co_u32_e32 v1, vcc, v2, v1, vcc
	global_store_dword v[0:1], v3, off
	s_endpgm
	.section	.rodata,"a",@progbits
	.p2align	6, 0x0
	.amdhsa_kernel _Z10mandelbrotPjjffffj
		.amdhsa_group_segment_fixed_size 0
		.amdhsa_private_segment_fixed_size 0
		.amdhsa_kernarg_size 288
		.amdhsa_user_sgpr_count 6
		.amdhsa_user_sgpr_private_segment_buffer 1
		.amdhsa_user_sgpr_dispatch_ptr 0
		.amdhsa_user_sgpr_queue_ptr 0
		.amdhsa_user_sgpr_kernarg_segment_ptr 1
		.amdhsa_user_sgpr_dispatch_id 0
		.amdhsa_user_sgpr_flat_scratch_init 0
		.amdhsa_user_sgpr_private_segment_size 0
		.amdhsa_uses_dynamic_stack 0
		.amdhsa_system_sgpr_private_segment_wavefront_offset 0
		.amdhsa_system_sgpr_workgroup_id_x 1
		.amdhsa_system_sgpr_workgroup_id_y 0
		.amdhsa_system_sgpr_workgroup_id_z 0
		.amdhsa_system_sgpr_workgroup_info 0
		.amdhsa_system_vgpr_workitem_id 0
		.amdhsa_next_free_vgpr 7
		.amdhsa_next_free_sgpr 12
		.amdhsa_reserve_vcc 1
		.amdhsa_reserve_flat_scratch 0
		.amdhsa_float_round_mode_32 0
		.amdhsa_float_round_mode_16_64 0
		.amdhsa_float_denorm_mode_32 3
		.amdhsa_float_denorm_mode_16_64 3
		.amdhsa_dx10_clamp 1
		.amdhsa_ieee_mode 1
		.amdhsa_fp16_overflow 0
		.amdhsa_exception_fp_ieee_invalid_op 0
		.amdhsa_exception_fp_denorm_src 0
		.amdhsa_exception_fp_ieee_div_zero 0
		.amdhsa_exception_fp_ieee_overflow 0
		.amdhsa_exception_fp_ieee_underflow 0
		.amdhsa_exception_fp_ieee_inexact 0
		.amdhsa_exception_int_div_zero 0
	.end_amdhsa_kernel
	.text
.Lfunc_end0:
	.size	_Z10mandelbrotPjjffffj, .Lfunc_end0-_Z10mandelbrotPjjffffj
                                        ; -- End function
	.set _Z10mandelbrotPjjffffj.num_vgpr, 7
	.set _Z10mandelbrotPjjffffj.num_agpr, 0
	.set _Z10mandelbrotPjjffffj.numbered_sgpr, 12
	.set _Z10mandelbrotPjjffffj.num_named_barrier, 0
	.set _Z10mandelbrotPjjffffj.private_seg_size, 0
	.set _Z10mandelbrotPjjffffj.uses_vcc, 1
	.set _Z10mandelbrotPjjffffj.uses_flat_scratch, 0
	.set _Z10mandelbrotPjjffffj.has_dyn_sized_stack, 0
	.set _Z10mandelbrotPjjffffj.has_recursion, 0
	.set _Z10mandelbrotPjjffffj.has_indirect_call, 0
	.section	.AMDGPU.csdata,"",@progbits
; Kernel info:
; codeLenInByte = 368
; TotalNumSgprs: 16
; NumVgprs: 7
; ScratchSize: 0
; MemoryBound: 0
; FloatMode: 240
; IeeeMode: 1
; LDSByteSize: 0 bytes/workgroup (compile time only)
; SGPRBlocks: 1
; VGPRBlocks: 1
; NumSGPRsForWavesPerEU: 16
; NumVGPRsForWavesPerEU: 7
; Occupancy: 10
; WaveLimiterHint : 0
; COMPUTE_PGM_RSRC2:SCRATCH_EN: 0
; COMPUTE_PGM_RSRC2:USER_SGPR: 6
; COMPUTE_PGM_RSRC2:TRAP_HANDLER: 0
; COMPUTE_PGM_RSRC2:TGID_X_EN: 1
; COMPUTE_PGM_RSRC2:TGID_Y_EN: 0
; COMPUTE_PGM_RSRC2:TGID_Z_EN: 0
; COMPUTE_PGM_RSRC2:TIDIG_COMP_CNT: 0
	.section	.AMDGPU.gpr_maximums,"",@progbits
	.set amdgpu.max_num_vgpr, 0
	.set amdgpu.max_num_agpr, 0
	.set amdgpu.max_num_sgpr, 0
	.section	.AMDGPU.csdata,"",@progbits
	.type	__hip_cuid_ec6b7ef029717b41,@object ; @__hip_cuid_ec6b7ef029717b41
	.section	.bss,"aw",@nobits
	.globl	__hip_cuid_ec6b7ef029717b41
__hip_cuid_ec6b7ef029717b41:
	.byte	0                               ; 0x0
	.size	__hip_cuid_ec6b7ef029717b41, 1

	.ident	"AMD clang version 22.0.0git (https://github.com/RadeonOpenCompute/llvm-project roc-7.2.4 26084 f58b06dce1f9c15707c5f808fd002e18c2accf7e)"
	.section	".note.GNU-stack","",@progbits
	.addrsig
	.addrsig_sym __hip_cuid_ec6b7ef029717b41
	.amdgpu_metadata
---
amdhsa.kernels:
  - .args:
      - .address_space:  global
        .offset:         0
        .size:           8
        .value_kind:     global_buffer
      - .offset:         8
        .size:           4
        .value_kind:     by_value
      - .offset:         12
        .size:           4
        .value_kind:     by_value
      - .offset:         16
        .size:           4
        .value_kind:     by_value
      - .offset:         20
        .size:           4
        .value_kind:     by_value
      - .offset:         24
        .size:           4
        .value_kind:     by_value
      - .offset:         28
        .size:           4
        .value_kind:     by_value
      - .offset:         32
        .size:           4
        .value_kind:     hidden_block_count_x
      - .offset:         36
        .size:           4
        .value_kind:     hidden_block_count_y
      - .offset:         40
        .size:           4
        .value_kind:     hidden_block_count_z
      - .offset:         44
        .size:           2
        .value_kind:     hidden_group_size_x
      - .offset:         46
        .size:           2
        .value_kind:     hidden_group_size_y
      - .offset:         48
        .size:           2
        .value_kind:     hidden_group_size_z
      - .offset:         50
        .size:           2
        .value_kind:     hidden_remainder_x
      - .offset:         52
        .size:           2
        .value_kind:     hidden_remainder_y
      - .offset:         54
        .size:           2
        .value_kind:     hidden_remainder_z
      - .offset:         72
        .size:           8
        .value_kind:     hidden_global_offset_x
      - .offset:         80
        .size:           8
        .value_kind:     hidden_global_offset_y
      - .offset:         88
        .size:           8
        .value_kind:     hidden_global_offset_z
      - .offset:         96
        .size:           2
        .value_kind:     hidden_grid_dims
    .group_segment_fixed_size: 0
    .kernarg_segment_align: 8
    .kernarg_segment_size: 288
    .language:       OpenCL C
    .language_version:
      - 2
      - 0
    .max_flat_workgroup_size: 1024
    .name:           _Z10mandelbrotPjjffffj
    .private_segment_fixed_size: 0
    .sgpr_count:     16
    .sgpr_spill_count: 0
    .symbol:         _Z10mandelbrotPjjffffj.kd
    .uniform_work_group_size: 1
    .uses_dynamic_stack: false
    .vgpr_count:     7
    .vgpr_spill_count: 0
    .wavefront_size: 64
amdhsa.target:   amdgcn-amd-amdhsa--gfx906
amdhsa.version:
  - 1
  - 2
...

	.end_amdgpu_metadata
